;; amdgpu-corpus repo=zjin-lcf/HeCBench kind=compiled arch=gfx90a opt=O3
	.text
	.amdgcn_target "amdgcn-amd-amdhsa--gfx90a"
	.amdhsa_code_object_version 6
	.protected	_Z17finite_differencePfPKfS1_iiii ; -- Begin function _Z17finite_differencePfPKfS1_iiii
	.globl	_Z17finite_differencePfPKfS1_iiii
	.p2align	8
	.type	_Z17finite_differencePfPKfS1_iiii,@function
_Z17finite_differencePfPKfS1_iiii:      ; @_Z17finite_differencePfPKfS1_iiii
; %bb.0:
	s_load_dwordx4 s[8:11], s[4:5], 0x18
	s_waitcnt lgkmcnt(0)
	s_cmp_lt_i32 s10, 1
	s_cbranch_scc1 .LBB0_9
; %bb.1:
	s_load_dword s0, s[4:5], 0x34
	s_load_dwordx4 s[12:15], s[4:5], 0x0
	s_load_dwordx2 s[16:17], s[4:5], 0x10
	v_bfe_u32 v28, v0, 10, 10
	s_add_i32 s25, s8, 8
	s_waitcnt lgkmcnt(0)
	s_lshr_b32 s4, s0, 16
	s_and_b32 s5, s0, 0xffff
	s_mul_i32 s0, s7, s4
	v_add_u32_e32 v29, s0, v28
	s_add_i32 s0, s9, 8
	s_mul_i32 s18, s0, s25
	s_lshl_b32 s0, s25, 2
	v_and_b32_e32 v7, 0x3ff, v0
	s_mul_i32 s6, s6, s5
	s_add_i32 s0, s0, s11
	v_add_u32_e32 v11, s6, v7
	s_add_i32 s0, s0, 4
	v_mul_lo_u32 v0, v29, s25
	v_add3_u32 v0, s0, v11, v0
	s_add_i32 s0, s18, s18
	v_add_u32_e32 v2, s0, v0
	v_ashrrev_i32_e32 v3, 31, v2
	v_lshlrev_b64 v[4:5], 2, v[2:3]
	v_mov_b32_e32 v30, s15
	v_add_co_u32_e32 v8, vcc, s14, v4
	v_ashrrev_i32_e32 v1, 31, v0
	v_addc_co_u32_e32 v9, vcc, v30, v5, vcc
	v_lshlrev_b64 v[0:1], 2, v[0:1]
	v_add_co_u32_e32 v14, vcc, s14, v0
	s_ashr_i32 s19, s18, 31
	v_addc_co_u32_e32 v15, vcc, v30, v1, vcc
	s_lshl_b64 s[20:21], s[18:19], 2
	v_add_u32_e32 v0, s0, v2
	v_mov_b32_e32 v3, s21
	v_add_co_u32_e32 v16, vcc, s20, v14
	v_ashrrev_i32_e32 v1, 31, v0
	v_addc_co_u32_e32 v17, vcc, v15, v3, vcc
	v_lshlrev_b64 v[0:1], 2, v[0:1]
	v_add_co_u32_e32 v18, vcc, s14, v0
	v_addc_co_u32_e32 v19, vcc, v30, v1, vcc
	v_add_co_u32_e32 v20, vcc, s20, v18
	v_addc_co_u32_e32 v21, vcc, v19, v3, vcc
	;; [unrolled: 2-line block ×5, first 2 shown]
	global_load_dword v0, v[8:9], off
	global_load_dword v3, v[14:15], off
	;; [unrolled: 1-line block ×8, first 2 shown]
	v_cmp_gt_i32_e32 vcc, s9, v29
	v_cmp_gt_i32_e64 s[0:1], s8, v11
	s_and_b64 s[22:23], vcc, s[0:1]
	v_lshlrev_b32_e32 v2, 2, v7
	s_movk_i32 s0, 0xa0
	v_mad_u32_u24 v13, v28, s0, v2
	s_mul_i32 s0, s4, 0xa0
	s_lshl_b32 s2, s9, 3
	v_add_u32_e32 v14, s0, v13
	v_cmp_gt_u32_e64 s[0:1], 4, v7
	v_add_u32_e32 v2, s11, v7
	v_add3_u32 v7, v29, s2, 64
	s_lshl_b32 s8, s8, 2
	s_add_i32 s11, s8, s6
	s_load_dword s19, s[16:17], 0x0
	v_cmp_gt_u32_e32 vcc, 4, v28
	v_lshl_add_u32 v15, s5, 2, v13
	s_mov_b32 s24, 0
	s_waitcnt vmcnt(6)
	v_mad_u64_u32 v[8:9], s[2:3], v7, s25, v[2:3]
	v_add3_u32 v8, s11, v8, 36
	v_ashrrev_i32_e32 v9, 31, v8
	v_lshlrev_b64 v[8:9], 2, v[8:9]
	v_add_co_u32_e64 v8, s[2:3], s14, v8
	v_addc_co_u32_e64 v9, s[2:3], v30, v9, s[2:3]
	s_add_i32 s3, s7, 1
	s_lshl_b32 s2, s9, 2
	s_mul_i32 s3, s3, s4
	v_add3_u32 v7, v29, s2, 32
	s_add_i32 s2, s2, s3
	v_mul_lo_u32 v7, v7, s25
	v_add3_u32 v11, s2, v28, 32
	v_add3_u32 v7, v2, v7, s6
	v_mad_u64_u32 v[18:19], s[2:3], v11, s25, v[2:3]
	v_add3_u32 v16, v7, s8, 36
	v_add3_u32 v17, s11, v18, 36
	v_add_u32_e32 v18, 4, v7
	s_lshl_b32 s11, s5, 2
	s_branch .LBB0_3
.LBB0_2:                                ;   in Loop: Header=BB0_3 Depth=1
	s_or_b64 exec, exec, s[8:9]
	s_add_i32 s10, s10, -1
	v_mov_b32_e32 v3, s21
	v_add_co_u32_e64 v8, s[2:3], s20, v8
	s_add_i32 s24, s24, s18
	v_addc_co_u32_e64 v9, s[2:3], v9, v3, s[2:3]
	s_cmp_eq_u32 s10, 0
	v_mov_b32_e32 v10, v12
	v_mov_b32_e32 v12, v4
	;; [unrolled: 1-line block ×4, first 2 shown]
	s_waitcnt vmcnt(0)
	v_mov_b32_e32 v6, v7
	v_mov_b32_e32 v3, v2
	s_cbranch_scc1 .LBB0_9
.LBB0_3:                                ; =>This Inner Loop Header: Depth=1
	global_load_dword v7, v[8:9], off
	s_waitcnt vmcnt(6)
	v_mov_b32_e32 v2, v1
	v_mov_b32_e32 v1, v0
	s_waitcnt vmcnt(1)
	v_mov_b32_e32 v0, v10
	s_waitcnt lgkmcnt(0)
	s_barrier
	s_and_saveexec_b64 s[4:5], vcc
	s_cbranch_execz .LBB0_5
; %bb.4:                                ;   in Loop: Header=BB0_3 Depth=1
	v_add_u32_e32 v10, s24, v18
	v_ashrrev_i32_e32 v11, 31, v10
	v_lshlrev_b64 v[10:11], 2, v[10:11]
	v_add_u32_e32 v20, s24, v17
	v_mov_b32_e32 v19, s15
	v_add_co_u32_e64 v10, s[2:3], s14, v10
	v_ashrrev_i32_e32 v21, 31, v20
	v_addc_co_u32_e64 v11, s[2:3], v19, v11, s[2:3]
	v_lshlrev_b64 v[20:21], 2, v[20:21]
	v_add_co_u32_e64 v20, s[2:3], s14, v20
	v_addc_co_u32_e64 v21, s[2:3], v19, v21, s[2:3]
	global_load_dword v19, v[10:11], off
	global_load_dword v22, v[20:21], off
	s_waitcnt vmcnt(1)
	ds_write_b32 v13, v19 offset:16
	s_waitcnt vmcnt(0)
	ds_write_b32 v14, v22 offset:656
.LBB0_5:                                ;   in Loop: Header=BB0_3 Depth=1
	s_or_b64 exec, exec, s[4:5]
	v_add_u32_e32 v10, s24, v16
	s_and_saveexec_b64 s[4:5], s[0:1]
	s_cbranch_execz .LBB0_7
; %bb.6:                                ;   in Loop: Header=BB0_3 Depth=1
	v_ashrrev_i32_e32 v11, 31, v10
	v_lshlrev_b64 v[20:21], 2, v[10:11]
	v_mov_b32_e32 v11, s15
	v_add_co_u32_e64 v20, s[2:3], s14, v20
	v_addc_co_u32_e64 v21, s[2:3], v11, v21, s[2:3]
	v_add_co_u32_e64 v22, s[2:3], s11, v20
	v_addc_co_u32_e64 v23, s[2:3], 0, v21, s[2:3]
	global_load_dword v11, v[20:21], off offset:-16
	global_load_dword v19, v[22:23], off
	s_waitcnt vmcnt(1)
	ds_write_b32 v13, v11 offset:640
	s_waitcnt vmcnt(0)
	ds_write_b32 v15, v19 offset:656
.LBB0_7:                                ;   in Loop: Header=BB0_3 Depth=1
	s_or_b64 exec, exec, s[4:5]
	ds_write_b32 v13, v12 offset:656
	s_waitcnt lgkmcnt(0)
	s_barrier
	s_and_saveexec_b64 s[8:9], s[22:23]
	s_cbranch_execz .LBB0_2
; %bb.8:                                ;   in Loop: Header=BB0_3 Depth=1
	ds_read2_b32 v[20:21], v13 offset0:84 offset1:124
	ds_read2_b32 v[24:25], v13 offset0:204 offset1:244
	v_pk_add_f32 v[22:23], v[4:5], v[0:1]
	s_load_dwordx4 s[4:7], s[16:17], 0x4
	v_add_u32_e32 v19, 0x400, v13
	s_waitcnt lgkmcnt(0)
	v_mov_b32_e32 v26, v21
	v_mov_b32_e32 v27, v20
	v_pk_add_f32 v[20:21], v[22:23], v[26:27]
	ds_read2_b32 v[22:23], v13 offset0:162 offset1:163
	ds_read2_b32 v[26:27], v13 offset0:165 offset1:166
	v_pk_add_f32 v[20:21], v[20:21], v[24:25]
	ds_read2_b32 v[24:25], v13 offset0:167 offset1:168
	ds_read2_b32 v[28:29], v13 offset0:160 offset1:161
	s_waitcnt lgkmcnt(3)
	v_pk_add_f32 v[20:21], v[20:21], v[22:23] op_sel:[0,1] op_sel_hi:[1,0]
	s_waitcnt lgkmcnt(2)
	v_pk_add_f32 v[20:21], v[20:21], v[26:27]
	v_pk_mul_f32 v[20:21], s[4:5], v[20:21]
	ds_read2_b32 v[22:23], v13 offset0:4 offset1:44
	v_fma_f32 v11, s19, v12, v20
	v_add_f32_e32 v11, v11, v21
	ds_read2_b32 v[20:21], v19 offset0:28 offset1:68
	s_waitcnt vmcnt(0)
	v_pk_add_f32 v[26:27], v[6:7], v[2:3]
	s_waitcnt lgkmcnt(1)
	v_mov_b32_e32 v30, v23
	v_mov_b32_e32 v31, v22
	v_pk_add_f32 v[22:23], v[26:27], v[30:31]
	s_waitcnt lgkmcnt(0)
	v_pk_add_f32 v[20:21], v[22:23], v[20:21]
	v_pk_add_f32 v[20:21], v[20:21], v[28:29] op_sel:[0,1] op_sel_hi:[1,0]
	v_pk_add_f32 v[20:21], v[20:21], v[24:25]
	v_pk_mul_f32 v[20:21], s[6:7], v[20:21]
	v_add_f32_e32 v3, v11, v20
	v_ashrrev_i32_e32 v11, 31, v10
	v_lshlrev_b64 v[10:11], 2, v[10:11]
	v_mov_b32_e32 v19, s13
	v_add_co_u32_e64 v10, s[2:3], s12, v10
	v_add_f32_e32 v3, v3, v21
	v_addc_co_u32_e64 v11, s[2:3], v19, v11, s[2:3]
	global_store_dword v[10:11], v3, off
	s_branch .LBB0_2
.LBB0_9:
	s_endpgm
	.section	.rodata,"a",@progbits
	.p2align	6, 0x0
	.amdhsa_kernel _Z17finite_differencePfPKfS1_iiii
		.amdhsa_group_segment_fixed_size 3840
		.amdhsa_private_segment_fixed_size 0
		.amdhsa_kernarg_size 296
		.amdhsa_user_sgpr_count 6
		.amdhsa_user_sgpr_private_segment_buffer 1
		.amdhsa_user_sgpr_dispatch_ptr 0
		.amdhsa_user_sgpr_queue_ptr 0
		.amdhsa_user_sgpr_kernarg_segment_ptr 1
		.amdhsa_user_sgpr_dispatch_id 0
		.amdhsa_user_sgpr_flat_scratch_init 0
		.amdhsa_user_sgpr_kernarg_preload_length 0
		.amdhsa_user_sgpr_kernarg_preload_offset 0
		.amdhsa_user_sgpr_private_segment_size 0
		.amdhsa_uses_dynamic_stack 0
		.amdhsa_system_sgpr_private_segment_wavefront_offset 0
		.amdhsa_system_sgpr_workgroup_id_x 1
		.amdhsa_system_sgpr_workgroup_id_y 1
		.amdhsa_system_sgpr_workgroup_id_z 0
		.amdhsa_system_sgpr_workgroup_info 0
		.amdhsa_system_vgpr_workitem_id 1
		.amdhsa_next_free_vgpr 32
		.amdhsa_next_free_sgpr 26
		.amdhsa_accum_offset 32
		.amdhsa_reserve_vcc 1
		.amdhsa_reserve_flat_scratch 0
		.amdhsa_float_round_mode_32 0
		.amdhsa_float_round_mode_16_64 0
		.amdhsa_float_denorm_mode_32 3
		.amdhsa_float_denorm_mode_16_64 3
		.amdhsa_dx10_clamp 1
		.amdhsa_ieee_mode 1
		.amdhsa_fp16_overflow 0
		.amdhsa_tg_split 0
		.amdhsa_exception_fp_ieee_invalid_op 0
		.amdhsa_exception_fp_denorm_src 0
		.amdhsa_exception_fp_ieee_div_zero 0
		.amdhsa_exception_fp_ieee_overflow 0
		.amdhsa_exception_fp_ieee_underflow 0
		.amdhsa_exception_fp_ieee_inexact 0
		.amdhsa_exception_int_div_zero 0
	.end_amdhsa_kernel
	.text
.Lfunc_end0:
	.size	_Z17finite_differencePfPKfS1_iiii, .Lfunc_end0-_Z17finite_differencePfPKfS1_iiii
                                        ; -- End function
	.section	.AMDGPU.csdata,"",@progbits
; Kernel info:
; codeLenInByte = 1192
; NumSgprs: 30
; NumVgprs: 32
; NumAgprs: 0
; TotalNumVgprs: 32
; ScratchSize: 0
; MemoryBound: 0
; FloatMode: 240
; IeeeMode: 1
; LDSByteSize: 3840 bytes/workgroup (compile time only)
; SGPRBlocks: 3
; VGPRBlocks: 3
; NumSGPRsForWavesPerEU: 30
; NumVGPRsForWavesPerEU: 32
; AccumOffset: 32
; Occupancy: 8
; WaveLimiterHint : 0
; COMPUTE_PGM_RSRC2:SCRATCH_EN: 0
; COMPUTE_PGM_RSRC2:USER_SGPR: 6
; COMPUTE_PGM_RSRC2:TRAP_HANDLER: 0
; COMPUTE_PGM_RSRC2:TGID_X_EN: 1
; COMPUTE_PGM_RSRC2:TGID_Y_EN: 1
; COMPUTE_PGM_RSRC2:TGID_Z_EN: 0
; COMPUTE_PGM_RSRC2:TIDIG_COMP_CNT: 1
; COMPUTE_PGM_RSRC3_GFX90A:ACCUM_OFFSET: 7
; COMPUTE_PGM_RSRC3_GFX90A:TG_SPLIT: 0
	.text
	.p2alignl 6, 3212836864
	.fill 256, 4, 3212836864
	.type	__hip_cuid_3d9ed329541415b2,@object ; @__hip_cuid_3d9ed329541415b2
	.section	.bss,"aw",@nobits
	.globl	__hip_cuid_3d9ed329541415b2
__hip_cuid_3d9ed329541415b2:
	.byte	0                               ; 0x0
	.size	__hip_cuid_3d9ed329541415b2, 1

	.ident	"AMD clang version 19.0.0git (https://github.com/RadeonOpenCompute/llvm-project roc-6.4.0 25133 c7fe45cf4b819c5991fe208aaa96edf142730f1d)"
	.section	".note.GNU-stack","",@progbits
	.addrsig
	.addrsig_sym __hip_cuid_3d9ed329541415b2
	.amdgpu_metadata
---
amdhsa.kernels:
  - .agpr_count:     0
    .args:
      - .actual_access:  write_only
        .address_space:  global
        .offset:         0
        .size:           8
        .value_kind:     global_buffer
      - .actual_access:  read_only
        .address_space:  global
        .offset:         8
        .size:           8
        .value_kind:     global_buffer
      - .actual_access:  read_only
        .address_space:  global
        .offset:         16
        .size:           8
        .value_kind:     global_buffer
      - .offset:         24
        .size:           4
        .value_kind:     by_value
      - .offset:         28
        .size:           4
        .value_kind:     by_value
      - .offset:         32
        .size:           4
        .value_kind:     by_value
      - .offset:         36
        .size:           4
        .value_kind:     by_value
      - .offset:         40
        .size:           4
        .value_kind:     hidden_block_count_x
      - .offset:         44
        .size:           4
        .value_kind:     hidden_block_count_y
      - .offset:         48
        .size:           4
        .value_kind:     hidden_block_count_z
      - .offset:         52
        .size:           2
        .value_kind:     hidden_group_size_x
      - .offset:         54
        .size:           2
        .value_kind:     hidden_group_size_y
      - .offset:         56
        .size:           2
        .value_kind:     hidden_group_size_z
      - .offset:         58
        .size:           2
        .value_kind:     hidden_remainder_x
      - .offset:         60
        .size:           2
        .value_kind:     hidden_remainder_y
      - .offset:         62
        .size:           2
        .value_kind:     hidden_remainder_z
      - .offset:         80
        .size:           8
        .value_kind:     hidden_global_offset_x
      - .offset:         88
        .size:           8
        .value_kind:     hidden_global_offset_y
      - .offset:         96
        .size:           8
        .value_kind:     hidden_global_offset_z
      - .offset:         104
        .size:           2
        .value_kind:     hidden_grid_dims
    .group_segment_fixed_size: 3840
    .kernarg_segment_align: 8
    .kernarg_segment_size: 296
    .language:       OpenCL C
    .language_version:
      - 2
      - 0
    .max_flat_workgroup_size: 1024
    .name:           _Z17finite_differencePfPKfS1_iiii
    .private_segment_fixed_size: 0
    .sgpr_count:     30
    .sgpr_spill_count: 0
    .symbol:         _Z17finite_differencePfPKfS1_iiii.kd
    .uniform_work_group_size: 1
    .uses_dynamic_stack: false
    .vgpr_count:     32
    .vgpr_spill_count: 0
    .wavefront_size: 64
amdhsa.target:   amdgcn-amd-amdhsa--gfx90a
amdhsa.version:
  - 1
  - 2
...

	.end_amdgpu_metadata
